;; amdgpu-corpus repo=ROCm/rocFFT kind=compiled arch=gfx1030 opt=O3
	.text
	.amdgcn_target "amdgcn-amd-amdhsa--gfx1030"
	.amdhsa_code_object_version 6
	.protected	bluestein_single_fwd_len539_dim1_dp_op_CI_CI ; -- Begin function bluestein_single_fwd_len539_dim1_dp_op_CI_CI
	.globl	bluestein_single_fwd_len539_dim1_dp_op_CI_CI
	.p2align	8
	.type	bluestein_single_fwd_len539_dim1_dp_op_CI_CI,@function
bluestein_single_fwd_len539_dim1_dp_op_CI_CI: ; @bluestein_single_fwd_len539_dim1_dp_op_CI_CI
; %bb.0:
	s_load_dwordx4 s[0:3], s[4:5], 0x28
	v_mul_u32_u24_e32 v1, 0x354, v0
	v_lshrrev_b32_e32 v1, 16, v1
	v_mad_u64_u32 v[92:93], null, s6, 3, v[1:2]
	v_mov_b32_e32 v93, 0
	s_waitcnt lgkmcnt(0)
	v_cmp_gt_u64_e32 vcc_lo, s[0:1], v[92:93]
	s_and_saveexec_b32 s0, vcc_lo
	s_cbranch_execz .LBB0_15
; %bb.1:
	v_mul_hi_u32 v2, 0xaaaaaaab, v92
	s_clause 0x1
	s_load_dwordx2 s[14:15], s[4:5], 0x0
	s_load_dwordx2 s[12:13], s[4:5], 0x38
	v_mul_lo_u16 v1, 0x4d, v1
	v_sub_nc_u16 v0, v0, v1
	v_lshrrev_b32_e32 v2, 1, v2
	v_and_b32_e32 v181, 0xffff, v0
	v_lshl_add_u32 v2, v2, 1, v2
	v_cmp_gt_u16_e32 vcc_lo, 49, v0
	v_lshlrev_b32_e32 v182, 4, v181
	v_sub_nc_u32_e32 v1, v92, v2
	v_mul_u32_u24_e32 v185, 0x21b, v1
	v_lshlrev_b32_e32 v183, 4, v185
	s_and_saveexec_b32 s1, vcc_lo
	s_cbranch_execz .LBB0_3
; %bb.2:
	s_load_dwordx2 s[6:7], s[4:5], 0x18
	s_waitcnt lgkmcnt(0)
	v_add_co_u32 v18, s0, s14, v182
	v_add_co_ci_u32_e64 v19, null, s15, 0, s0
	v_add_co_u32 v22, s0, 0x800, v18
	v_add_co_ci_u32_e64 v23, s0, 0, v19, s0
	v_add_co_u32 v28, s0, 0x1000, v18
	v_add_co_ci_u32_e64 v29, s0, 0, v19, s0
	;; [unrolled: 2-line block ×3, first 2 shown]
	s_load_dwordx4 s[8:11], s[6:7], 0x0
	s_clause 0x2
	global_load_dwordx4 v[0:3], v182, s[14:15]
	global_load_dwordx4 v[4:7], v182, s[14:15] offset:784
	global_load_dwordx4 v[8:11], v182, s[14:15] offset:1568
	s_waitcnt lgkmcnt(0)
	v_mad_u64_u32 v[20:21], null, s8, v181, 0
	v_mad_u64_u32 v[12:13], null, s10, v92, 0
	s_mul_i32 s6, s9, 0x310
	s_mul_hi_u32 s7, s8, 0x310
	s_add_i32 s7, s7, s6
	v_mov_b32_e32 v14, v21
	v_mad_u64_u32 v[15:16], null, s11, v92, v[13:14]
	v_mad_u64_u32 v[16:17], null, s9, v181, v[14:15]
	v_mov_b32_e32 v13, v15
	v_lshlrev_b64 v[24:25], 4, v[12:13]
	v_mov_b32_e32 v21, v16
	s_clause 0x1
	global_load_dwordx4 v[12:15], v[22:23], off offset:304
	global_load_dwordx4 v[16:19], v[22:23], off offset:1088
	v_add_co_u32 v24, s0, s2, v24
	v_lshlrev_b64 v[20:21], 4, v[20:21]
	v_add_co_ci_u32_e64 v25, s0, s3, v25, s0
	s_mul_i32 s2, s8, 0x310
	v_add_co_u32 v32, s0, v24, v20
	v_add_co_ci_u32_e64 v33, s0, v25, v21, s0
	global_load_dwordx4 v[20:23], v[22:23], off offset:1872
	v_add_co_u32 v36, s0, v32, s2
	v_add_co_ci_u32_e64 v37, s0, s7, v33, s0
	s_clause 0x1
	global_load_dwordx4 v[24:27], v[28:29], off offset:608
	global_load_dwordx4 v[28:31], v[28:29], off offset:1392
	v_add_co_u32 v40, s0, v36, s2
	v_add_co_ci_u32_e64 v41, s0, s7, v37, s0
	s_clause 0x1
	global_load_dwordx4 v[32:35], v[32:33], off
	global_load_dwordx4 v[36:39], v[36:37], off
	v_add_co_u32 v44, s0, v40, s2
	v_add_co_ci_u32_e64 v45, s0, s7, v41, s0
	v_add_co_u32 v48, s0, v44, s2
	v_add_co_ci_u32_e64 v49, s0, s7, v45, s0
	s_clause 0x1
	global_load_dwordx4 v[40:43], v[40:41], off
	global_load_dwordx4 v[44:47], v[44:45], off
	v_add_co_u32 v52, s0, v48, s2
	v_add_co_ci_u32_e64 v53, s0, s7, v49, s0
	global_load_dwordx4 v[48:51], v[48:49], off
	v_add_co_u32 v56, s0, v52, s2
	v_add_co_ci_u32_e64 v57, s0, s7, v53, s0
	;; [unrolled: 3-line block ×6, first 2 shown]
	s_clause 0x1
	global_load_dwordx4 v[68:71], v[80:81], off offset:128
	global_load_dwordx4 v[72:75], v[80:81], off offset:912
	global_load_dwordx4 v[76:79], v[76:77], off
	global_load_dwordx4 v[80:83], v[80:81], off offset:1696
	global_load_dwordx4 v[84:87], v[84:85], off
	s_waitcnt vmcnt(13)
	v_mul_f64 v[88:89], v[34:35], v[2:3]
	v_mul_f64 v[2:3], v[32:33], v[2:3]
	s_waitcnt vmcnt(12)
	v_mul_f64 v[90:91], v[38:39], v[6:7]
	v_mul_f64 v[6:7], v[36:37], v[6:7]
	;; [unrolled: 3-line block ×8, first 2 shown]
	v_fma_f64 v[30:31], v[32:33], v[0:1], v[88:89]
	v_fma_f64 v[32:33], v[34:35], v[0:1], -v[2:3]
	v_fma_f64 v[0:1], v[36:37], v[4:5], v[90:91]
	v_fma_f64 v[2:3], v[38:39], v[4:5], -v[6:7]
	s_waitcnt vmcnt(4)
	v_mul_f64 v[107:108], v[66:67], v[70:71]
	v_mul_f64 v[70:71], v[64:65], v[70:71]
	s_waitcnt vmcnt(2)
	v_mul_f64 v[109:110], v[78:79], v[74:75]
	v_mul_f64 v[74:75], v[76:77], v[74:75]
	;; [unrolled: 3-line block ×3, first 2 shown]
	v_fma_f64 v[4:5], v[40:41], v[8:9], v[93:94]
	v_fma_f64 v[6:7], v[42:43], v[8:9], -v[10:11]
	v_fma_f64 v[8:9], v[44:45], v[12:13], v[95:96]
	v_fma_f64 v[10:11], v[46:47], v[12:13], -v[14:15]
	;; [unrolled: 2-line block ×6, first 2 shown]
	v_lshl_add_u32 v28, v181, 4, v183
	v_add_nc_u32_e32 v29, v183, v182
	v_fma_f64 v[34:35], v[64:65], v[68:69], v[107:108]
	v_fma_f64 v[36:37], v[66:67], v[68:69], -v[70:71]
	v_fma_f64 v[38:39], v[76:77], v[72:73], v[109:110]
	v_fma_f64 v[40:41], v[78:79], v[72:73], -v[74:75]
	v_fma_f64 v[42:43], v[84:85], v[80:81], v[111:112]
	v_fma_f64 v[44:45], v[86:87], v[80:81], -v[82:83]
	ds_write_b128 v28, v[30:33]
	ds_write_b128 v29, v[0:3] offset:784
	ds_write_b128 v29, v[4:7] offset:1568
	;; [unrolled: 1-line block ×10, first 2 shown]
.LBB0_3:
	s_or_b32 exec_lo, exec_lo, s1
	s_clause 0x1
	s_load_dwordx2 s[2:3], s[4:5], 0x20
	s_load_dwordx2 s[0:1], s[4:5], 0x8
	s_waitcnt lgkmcnt(0)
	s_barrier
	buffer_gl0_inv
                                        ; implicit-def: $vgpr32_vgpr33
                                        ; implicit-def: $vgpr44_vgpr45
                                        ; implicit-def: $vgpr48_vgpr49
                                        ; implicit-def: $vgpr52_vgpr53
                                        ; implicit-def: $vgpr56_vgpr57
                                        ; implicit-def: $vgpr40_vgpr41
                                        ; implicit-def: $vgpr36_vgpr37
                                        ; implicit-def: $vgpr28_vgpr29
                                        ; implicit-def: $vgpr24_vgpr25
                                        ; implicit-def: $vgpr20_vgpr21
                                        ; implicit-def: $vgpr16_vgpr17
	s_and_saveexec_b32 s4, vcc_lo
	s_cbranch_execz .LBB0_5
; %bb.4:
	v_lshl_add_u32 v0, v185, 4, v182
	ds_read_b128 v[32:35], v0
	ds_read_b128 v[44:47], v0 offset:784
	ds_read_b128 v[48:51], v0 offset:1568
	;; [unrolled: 1-line block ×10, first 2 shown]
.LBB0_5:
	s_or_b32 exec_lo, exec_lo, s4
	s_waitcnt lgkmcnt(0)
	v_add_f64 v[82:83], v[46:47], -v[18:19]
	v_add_f64 v[80:81], v[44:45], -v[16:17]
	s_mov_b32 s8, 0xf8bb580b
	s_mov_b32 s9, 0xbfe14ced
	v_add_f64 v[64:65], v[44:45], v[16:17]
	v_add_f64 v[72:73], v[46:47], v[18:19]
	v_add_f64 v[78:79], v[50:51], -v[22:23]
	v_add_f64 v[66:67], v[48:49], -v[20:21]
	s_mov_b32 s4, 0x8764f0ba
	s_mov_b32 s22, 0x8eee2c13
	;; [unrolled: 1-line block ×8, first 2 shown]
	v_add_f64 v[60:61], v[48:49], v[20:21]
	v_add_f64 v[62:63], v[50:51], v[22:23]
	s_mov_b32 s6, 0xd9c712b6
	s_mov_b32 s10, 0x640f44db
	;; [unrolled: 1-line block ×4, first 2 shown]
	v_mul_f64 v[131:132], v[82:83], s[8:9]
	v_mul_f64 v[133:134], v[80:81], s[8:9]
	;; [unrolled: 1-line block ×10, first 2 shown]
	s_mov_b32 s7, 0x3fda9628
	s_mov_b32 s11, 0xbfc2375f
	;; [unrolled: 1-line block ×6, first 2 shown]
	v_add_f64 v[84:85], v[54:55], -v[26:27]
	v_add_f64 v[93:94], v[52:53], -v[24:25]
	v_mul_f64 v[139:140], v[78:79], s[24:25]
	v_mul_f64 v[145:146], v[66:67], s[24:25]
	;; [unrolled: 1-line block ×4, first 2 shown]
	v_fma_f64 v[0:1], v[64:65], s[4:5], v[131:132]
	v_fma_f64 v[2:3], v[72:73], s[4:5], -v[133:134]
	v_fma_f64 v[4:5], v[64:65], s[6:7], v[157:158]
	v_fma_f64 v[6:7], v[72:73], s[6:7], -v[161:162]
	;; [unrolled: 2-line block ×4, first 2 shown]
	v_mul_f64 v[159:160], v[78:79], s[28:29]
	v_mul_f64 v[165:166], v[66:67], s[28:29]
	v_fma_f64 v[95:96], v[64:65], s[18:19], v[177:178]
	v_fma_f64 v[97:98], v[72:73], s[18:19], -v[179:180]
	s_mov_b32 s20, 0x9bcd5057
	s_mov_b32 s21, 0xbfeeb42a
	;; [unrolled: 1-line block ×4, first 2 shown]
	v_add_f64 v[68:69], v[52:53], v[24:25]
	v_add_f64 v[74:75], v[54:55], v[26:27]
	v_add_f64 v[90:91], v[58:59], -v[30:31]
	v_add_f64 v[127:128], v[56:57], -v[28:29]
	v_mul_f64 v[135:136], v[84:85], s[16:17]
	v_mul_f64 v[137:138], v[93:94], s[16:17]
	v_add_f64 v[0:1], v[32:33], v[0:1]
	v_add_f64 v[2:3], v[34:35], v[2:3]
	v_mul_f64 v[141:142], v[84:85], s[30:31]
	v_mul_f64 v[143:144], v[93:94], s[30:31]
	;; [unrolled: 1-line block ×3, first 2 shown]
	v_fma_f64 v[101:102], v[60:61], s[18:19], v[139:140]
	v_fma_f64 v[105:106], v[62:63], s[18:19], -v[145:146]
	v_add_f64 v[4:5], v[32:33], v[4:5]
	v_add_f64 v[6:7], v[34:35], v[6:7]
	v_fma_f64 v[109:110], v[60:61], s[20:21], v[151:152]
	v_fma_f64 v[113:114], v[62:63], s[20:21], -v[153:154]
	v_add_f64 v[12:13], v[32:33], v[12:13]
	v_add_f64 v[14:15], v[34:35], v[14:15]
	v_mul_f64 v[163:164], v[93:94], s[26:27]
	v_add_f64 v[115:116], v[32:33], v[95:96]
	v_add_f64 v[117:118], v[34:35], v[97:98]
	v_mul_f64 v[167:168], v[84:85], s[8:9]
	v_mul_f64 v[173:174], v[93:94], s[8:9]
	s_mov_b32 s35, 0xbfd207e7
	s_mov_b32 s34, s30
	v_add_f64 v[70:71], v[56:57], v[28:29]
	v_add_f64 v[76:77], v[58:59], v[30:31]
	;; [unrolled: 1-line block ×4, first 2 shown]
	v_fma_f64 v[8:9], v[60:61], s[10:11], v[159:160]
	v_fma_f64 v[10:11], v[62:63], s[10:11], -v[165:166]
	v_add_f64 v[129:130], v[42:43], -v[38:39]
	v_mul_f64 v[86:87], v[90:91], s[24:25]
	v_mul_f64 v[88:89], v[127:128], s[24:25]
	v_fma_f64 v[99:100], v[68:69], s[10:11], v[135:136]
	v_fma_f64 v[107:108], v[74:75], s[10:11], -v[137:138]
	v_add_f64 v[175:176], v[40:41], -v[36:37]
	v_mul_f64 v[95:96], v[90:91], s[28:29]
	v_mul_f64 v[97:98], v[127:128], s[28:29]
	v_fma_f64 v[123:124], v[68:69], s[20:21], v[141:142]
	v_fma_f64 v[125:126], v[74:75], s[20:21], -v[143:144]
	v_add_f64 v[4:5], v[101:102], v[4:5]
	v_add_f64 v[6:7], v[105:106], v[6:7]
	v_fma_f64 v[190:191], v[68:69], s[6:7], v[155:156]
	v_add_f64 v[12:13], v[109:110], v[12:13]
	v_add_f64 v[14:15], v[113:114], v[14:15]
	v_fma_f64 v[192:193], v[74:75], s[6:7], -v[163:164]
	v_mul_f64 v[109:110], v[90:91], s[8:9]
	v_mul_f64 v[113:114], v[127:128], s[8:9]
	v_fma_f64 v[194:195], v[68:69], s[4:5], v[167:168]
	v_fma_f64 v[196:197], v[74:75], s[4:5], -v[173:174]
	v_add_f64 v[8:9], v[8:9], v[115:116]
	v_add_f64 v[10:11], v[10:11], v[117:118]
	v_mul_f64 v[119:120], v[90:91], s[34:35]
	v_mul_f64 v[121:122], v[127:128], s[34:35]
	s_mov_b32 s37, 0x3fe14ced
	s_mov_b32 s36, s8
	v_fma_f64 v[186:187], v[70:71], s[18:19], v[86:87]
	v_fma_f64 v[188:189], v[76:77], s[18:19], -v[88:89]
	v_add_f64 v[0:1], v[99:100], v[0:1]
	v_add_f64 v[2:3], v[107:108], v[2:3]
	v_add_f64 v[147:148], v[40:41], v[36:37]
	v_mul_f64 v[99:100], v[129:130], s[34:35]
	v_add_f64 v[149:150], v[42:43], v[38:39]
	v_mul_f64 v[101:102], v[175:176], s[34:35]
	v_add_f64 v[4:5], v[123:124], v[4:5]
	v_add_f64 v[6:7], v[125:126], v[6:7]
	v_fma_f64 v[198:199], v[70:71], s[10:11], v[95:96]
	v_fma_f64 v[200:201], v[76:77], s[10:11], -v[97:98]
	v_mul_f64 v[105:106], v[129:130], s[36:37]
	v_mul_f64 v[107:108], v[175:176], s[36:37]
	v_add_f64 v[12:13], v[190:191], v[12:13]
	v_add_f64 v[14:15], v[192:193], v[14:15]
	v_fma_f64 v[190:191], v[70:71], s[4:5], v[109:110]
	v_fma_f64 v[192:193], v[76:77], s[4:5], -v[113:114]
	v_mul_f64 v[115:116], v[129:130], s[24:25]
	;; [unrolled: 6-line block ×3, first 2 shown]
	v_mul_f64 v[125:126], v[175:176], s[26:27]
	v_add_f64 v[0:1], v[186:187], v[0:1]
	v_add_f64 v[2:3], v[188:189], v[2:3]
	v_fma_f64 v[186:187], v[147:148], s[20:21], v[99:100]
	v_fma_f64 v[188:189], v[149:150], s[20:21], -v[101:102]
	v_mul_lo_u16 v184, v181, 11
	v_add_f64 v[4:5], v[198:199], v[4:5]
	v_add_f64 v[6:7], v[200:201], v[6:7]
	v_fma_f64 v[198:199], v[147:148], s[4:5], v[105:106]
	v_fma_f64 v[200:201], v[149:150], s[4:5], -v[107:108]
	s_barrier
	buffer_gl0_inv
	v_add_f64 v[12:13], v[190:191], v[12:13]
	v_add_f64 v[14:15], v[192:193], v[14:15]
	v_fma_f64 v[190:191], v[147:148], s[18:19], v[115:116]
	v_fma_f64 v[192:193], v[149:150], s[18:19], -v[117:118]
	v_add_f64 v[194:195], v[194:195], v[8:9]
	v_add_f64 v[196:197], v[196:197], v[10:11]
	v_fma_f64 v[202:203], v[147:148], s[6:7], v[123:124]
	v_fma_f64 v[204:205], v[149:150], s[6:7], -v[125:126]
	v_add_f64 v[0:1], v[186:187], v[0:1]
	v_add_f64 v[2:3], v[188:189], v[2:3]
	;; [unrolled: 1-line block ×8, first 2 shown]
	s_and_saveexec_b32 s33, vcc_lo
	s_cbranch_execz .LBB0_7
; %bb.6:
	v_add_f64 v[44:45], v[32:33], v[44:45]
	v_add_f64 v[46:47], v[34:35], v[46:47]
	v_mul_f64 v[78:79], v[78:79], s[36:37]
	v_mul_f64 v[84:85], v[84:85], s[24:25]
	;; [unrolled: 1-line block ×4, first 2 shown]
	v_add_f64 v[44:45], v[44:45], v[48:49]
	v_add_f64 v[46:47], v[46:47], v[50:51]
	v_mul_f64 v[48:49], v[72:73], s[20:21]
	v_mul_f64 v[50:51], v[72:73], s[18:19]
	v_add_f64 v[44:45], v[44:45], v[52:53]
	v_add_f64 v[46:47], v[46:47], v[54:55]
	v_mul_f64 v[52:53], v[64:65], s[18:19]
	v_mul_f64 v[54:55], v[72:73], s[10:11]
	v_add_f64 v[50:51], v[179:180], v[50:51]
	v_add_f64 v[44:45], v[44:45], v[56:57]
	v_mul_f64 v[56:57], v[82:83], s[34:35]
	v_add_f64 v[46:47], v[46:47], v[58:59]
	v_fma_f64 v[58:59], v[80:81], s[30:31], v[48:49]
	v_fma_f64 v[48:49], v[80:81], s[34:35], v[48:49]
	v_mul_f64 v[80:81], v[72:73], s[4:5]
	v_mul_f64 v[82:83], v[64:65], s[6:7]
	v_add_f64 v[52:53], v[52:53], -v[177:178]
	v_mul_f64 v[177:178], v[64:65], s[10:11]
	v_mul_f64 v[72:73], v[72:73], s[6:7]
	v_add_f64 v[54:55], v[171:172], v[54:55]
	v_add_f64 v[50:51], v[34:35], v[50:51]
	s_mov_b32 s31, 0x3fe82f19
	s_mov_b32 s30, s24
	v_add_f64 v[40:41], v[44:45], v[40:41]
	v_fma_f64 v[171:172], v[64:65], s[20:21], v[56:57]
	v_fma_f64 v[56:57], v[64:65], s[20:21], -v[56:57]
	v_mul_f64 v[64:65], v[64:65], s[4:5]
	v_add_f64 v[42:43], v[46:47], v[42:43]
	v_add_f64 v[80:81], v[133:134], v[80:81]
	v_add_f64 v[82:83], v[82:83], -v[157:158]
	v_mul_f64 v[46:47], v[149:150], s[10:11]
	v_add_f64 v[169:170], v[177:178], -v[169:170]
	v_add_f64 v[72:73], v[161:162], v[72:73]
	v_mul_f64 v[157:158], v[76:77], s[6:7]
	v_mul_f64 v[161:162], v[74:75], s[18:19]
	;; [unrolled: 1-line block ×3, first 2 shown]
	v_add_f64 v[58:59], v[34:35], v[58:59]
	v_add_f64 v[48:49], v[34:35], v[48:49]
	v_add_f64 v[52:53], v[32:33], v[52:53]
	v_add_f64 v[54:55], v[34:35], v[54:55]
	v_mul_f64 v[133:134], v[60:61], s[10:11]
	v_mul_f64 v[44:45], v[74:75], s[4:5]
	v_add_f64 v[36:37], v[40:41], v[36:37]
	v_add_f64 v[171:172], v[32:33], v[171:172]
	;; [unrolled: 1-line block ×3, first 2 shown]
	v_add_f64 v[64:65], v[64:65], -v[131:132]
	v_mul_f64 v[131:132], v[62:63], s[20:21]
	v_add_f64 v[38:39], v[42:43], v[38:39]
	v_add_f64 v[82:83], v[32:33], v[82:83]
	v_mul_f64 v[40:41], v[74:75], s[6:7]
	v_add_f64 v[169:170], v[32:33], v[169:170]
	v_add_f64 v[72:73], v[34:35], v[72:73]
	;; [unrolled: 1-line block ×3, first 2 shown]
	v_mul_f64 v[80:81], v[68:69], s[4:5]
	v_fma_f64 v[42:43], v[175:176], s[28:29], v[46:47]
	v_fma_f64 v[46:47], v[175:176], s[16:17], v[46:47]
	;; [unrolled: 1-line block ×8, first 2 shown]
	v_mul_f64 v[177:178], v[68:69], s[6:7]
	v_add_f64 v[44:45], v[173:174], v[44:45]
	v_mul_f64 v[173:174], v[60:61], s[20:21]
	v_add_f64 v[133:134], v[133:134], -v[159:160]
	v_fma_f64 v[159:160], v[60:61], s[4:5], v[78:79]
	v_add_f64 v[32:33], v[32:33], v[64:65]
	v_mul_f64 v[64:65], v[62:63], s[10:11]
	v_fma_f64 v[78:79], v[60:61], s[4:5], -v[78:79]
	v_add_f64 v[131:132], v[153:154], v[131:132]
	v_add_f64 v[40:41], v[163:164], v[40:41]
	v_mul_f64 v[163:164], v[74:75], s[20:21]
	v_mul_f64 v[153:154], v[68:69], s[20:21]
	;; [unrolled: 1-line block ×3, first 2 shown]
	v_add_f64 v[80:81], v[80:81], -v[167:168]
	v_mul_f64 v[167:168], v[60:61], s[6:7]
	v_mul_f64 v[60:61], v[60:61], s[18:19]
	v_add_f64 v[30:31], v[38:39], v[30:31]
	v_add_f64 v[28:29], v[36:37], v[28:29]
	;; [unrolled: 1-line block ×4, first 2 shown]
	v_add_f64 v[155:156], v[177:178], -v[155:156]
	v_fma_f64 v[177:178], v[68:69], s[18:19], v[84:85]
	v_fma_f64 v[84:85], v[68:69], s[18:19], -v[84:85]
	v_mul_f64 v[68:69], v[68:69], s[10:11]
	v_add_f64 v[151:152], v[173:174], -v[151:152]
	v_mul_f64 v[173:174], v[70:71], s[18:19]
	v_add_f64 v[64:65], v[165:166], v[64:65]
	v_mul_f64 v[165:166], v[62:63], s[18:19]
	v_mul_f64 v[62:63], v[62:63], s[6:7]
	v_add_f64 v[54:55], v[131:132], v[54:55]
	v_add_f64 v[143:144], v[143:144], v[163:164]
	v_mul_f64 v[163:164], v[76:77], s[4:5]
	v_add_f64 v[141:142], v[153:154], -v[141:142]
	v_fma_f64 v[153:154], v[70:71], s[6:7], v[90:91]
	v_add_f64 v[103:104], v[167:168], -v[103:104]
	v_add_f64 v[60:61], v[60:61], -v[139:140]
	v_mul_f64 v[167:168], v[76:77], s[10:11]
	v_mul_f64 v[139:140], v[70:71], s[4:5]
	v_fma_f64 v[90:91], v[70:71], s[6:7], -v[90:91]
	v_add_f64 v[74:75], v[137:138], v[74:75]
	v_add_f64 v[52:53], v[133:134], v[52:53]
	;; [unrolled: 1-line block ×4, first 2 shown]
	v_mul_f64 v[137:138], v[147:148], s[20:21]
	v_add_f64 v[58:59], v[157:158], v[58:59]
	v_add_f64 v[68:69], v[68:69], -v[135:136]
	v_mul_f64 v[135:136], v[149:150], s[20:21]
	v_add_f64 v[86:87], v[173:174], -v[86:87]
	v_add_f64 v[50:51], v[64:65], v[50:51]
	v_add_f64 v[145:146], v[145:146], v[165:166]
	;; [unrolled: 1-line block ×3, first 2 shown]
	v_mul_f64 v[165:166], v[76:77], s[18:19]
	v_mul_f64 v[111:112], v[70:71], s[10:11]
	v_mul_f64 v[70:71], v[70:71], s[20:21]
	v_mul_f64 v[76:77], v[76:77], s[20:21]
	v_mul_f64 v[64:65], v[149:150], s[18:19]
	v_add_f64 v[32:33], v[103:104], v[32:33]
	v_add_f64 v[60:61], v[60:61], v[82:83]
	;; [unrolled: 1-line block ×4, first 2 shown]
	v_mul_f64 v[161:162], v[147:148], s[4:5]
	v_mul_f64 v[171:172], v[149:150], s[4:5]
	;; [unrolled: 1-line block ×4, first 2 shown]
	v_fma_f64 v[131:132], v[147:148], s[10:11], v[129:130]
	v_fma_f64 v[129:130], v[147:148], s[10:11], -v[129:130]
	v_mul_f64 v[147:148], v[147:148], s[6:7]
	v_add_f64 v[52:53], v[80:81], v[52:53]
	v_add_f64 v[48:49], v[93:94], v[48:49]
	;; [unrolled: 1-line block ×8, first 2 shown]
	v_add_f64 v[38:39], v[70:71], -v[119:120]
	v_add_f64 v[36:37], v[121:122], v[76:77]
	v_add_f64 v[70:71], v[113:114], v[163:164]
	;; [unrolled: 1-line block ×3, first 2 shown]
	v_add_f64 v[82:83], v[111:112], -v[95:96]
	v_add_f64 v[54:55], v[141:142], v[60:61]
	v_add_f64 v[76:77], v[139:140], -v[109:110]
	v_add_f64 v[95:96], v[177:178], v[159:160]
	v_add_f64 v[26:27], v[30:31], v[26:27]
	;; [unrolled: 1-line block ×4, first 2 shown]
	v_add_f64 v[80:81], v[137:138], -v[99:100]
	v_add_f64 v[30:31], v[175:176], v[58:59]
	v_add_f64 v[28:29], v[125:126], v[149:150]
	;; [unrolled: 1-line block ×3, first 2 shown]
	v_add_f64 v[66:67], v[66:67], -v[115:116]
	v_add_f64 v[48:49], v[127:128], v[48:49]
	v_add_f64 v[56:57], v[90:91], v[56:57]
	;; [unrolled: 1-line block ×6, first 2 shown]
	v_add_f64 v[72:73], v[161:162], -v[105:106]
	v_add_f64 v[36:37], v[36:37], v[44:45]
	v_add_f64 v[40:41], v[70:71], v[40:41]
	;; [unrolled: 1-line block ×3, first 2 shown]
	v_add_f64 v[62:63], v[147:148], -v[123:124]
	v_add_f64 v[54:55], v[82:83], v[54:55]
	v_add_f64 v[52:53], v[38:39], v[52:53]
	;; [unrolled: 1-line block ×22, first 2 shown]
	v_and_b32_e32 v44, 0xffff, v184
	v_add_lshl_u32 v44, v185, v44, 4
	ds_write_b128 v44, v[12:15] offset:112
	ds_write_b128 v44, v[8:11] offset:128
	;; [unrolled: 1-line block ×9, first 2 shown]
	ds_write_b128 v44, v[16:19]
	ds_write_b128 v44, v[0:3] offset:160
.LBB0_7:
	s_or_b32 exec_lo, exec_lo, s33
	v_and_b32_e32 v16, 0xff, v181
	s_load_dwordx4 s[4:7], s[2:3], 0x0
	s_waitcnt lgkmcnt(0)
	s_barrier
	buffer_gl0_inv
	v_mul_lo_u16 v16, 0x75, v16
	v_add_lshl_u32 v103, v185, v181, 4
	s_mov_b32 s8, 0x37e14327
	s_mov_b32 s18, 0xe976ee23
	;; [unrolled: 1-line block ×3, first 2 shown]
	v_lshrrev_b16 v16, 8, v16
	s_mov_b32 s19, 0xbfe11646
	s_mov_b32 s10, 0x429ad128
	;; [unrolled: 1-line block ×4, first 2 shown]
	v_sub_nc_u16 v17, v181, v16
	s_mov_b32 s3, 0x3fac98ee
	s_mov_b32 s16, 0xaaaaaaaa
	;; [unrolled: 1-line block ×4, first 2 shown]
	v_lshrrev_b16 v17, 1, v17
	s_mov_b32 s20, 0x5476071b
	s_mov_b32 s25, 0x3fd5d0dc
	;; [unrolled: 1-line block ×4, first 2 shown]
	v_and_b32_e32 v17, 0x7f, v17
	s_mov_b32 s27, 0xbfd5d0dc
	s_mov_b32 s22, s20
	s_mov_b32 s26, s24
	s_mov_b32 s28, 0x37c3f68c
	v_add_nc_u16 v16, v17, v16
	v_mov_b32_e32 v17, 6
	s_mov_b32 s29, 0x3fdc38aa
	v_lshl_add_u32 v104, v181, 4, v183
	v_lshrrev_b16 v88, 3, v16
	v_mul_lo_u16 v16, v88, 11
	v_sub_nc_u16 v89, v181, v16
	v_mul_u32_u24_sdwa v16, v89, v17 dst_sel:DWORD dst_unused:UNUSED_PAD src0_sel:BYTE_0 src1_sel:DWORD
	v_lshlrev_b32_e32 v28, 4, v16
	s_clause 0x5
	global_load_dwordx4 v[20:23], v28, s[0:1]
	global_load_dwordx4 v[16:19], v28, s[0:1] offset:16
	global_load_dwordx4 v[24:27], v28, s[0:1] offset:80
	;; [unrolled: 1-line block ×5, first 2 shown]
	ds_read_b128 v[40:43], v103 offset:1232
	ds_read_b128 v[44:47], v103 offset:2464
	;; [unrolled: 1-line block ×6, first 2 shown]
	s_waitcnt vmcnt(5) lgkmcnt(5)
	v_mul_f64 v[64:65], v[42:43], v[22:23]
	v_mul_f64 v[66:67], v[40:41], v[22:23]
	s_waitcnt vmcnt(4) lgkmcnt(4)
	v_mul_f64 v[68:69], v[46:47], v[18:19]
	v_mul_f64 v[70:71], v[44:45], v[18:19]
	;; [unrolled: 3-line block ×6, first 2 shown]
	v_fma_f64 v[40:41], v[40:41], v[20:21], -v[64:65]
	v_fma_f64 v[42:43], v[42:43], v[20:21], v[66:67]
	v_fma_f64 v[44:45], v[44:45], v[16:17], -v[68:69]
	v_fma_f64 v[46:47], v[46:47], v[16:17], v[70:71]
	;; [unrolled: 2-line block ×6, first 2 shown]
	v_add_f64 v[64:65], v[40:41], v[48:49]
	v_add_f64 v[66:67], v[42:43], v[50:51]
	;; [unrolled: 1-line block ×4, first 2 shown]
	v_add_f64 v[44:45], v[44:45], -v[52:53]
	v_add_f64 v[46:47], v[46:47], -v[54:55]
	v_add_f64 v[52:53], v[56:57], v[60:61]
	v_add_f64 v[54:55], v[58:59], v[62:63]
	v_add_f64 v[56:57], v[60:61], -v[56:57]
	v_add_f64 v[58:59], v[62:63], -v[58:59]
	;; [unrolled: 1-line block ×4, first 2 shown]
	ds_read_b128 v[40:43], v103
	s_waitcnt lgkmcnt(0)
	s_barrier
	buffer_gl0_inv
	v_add_f64 v[60:61], v[68:69], v[64:65]
	v_add_f64 v[62:63], v[70:71], v[66:67]
	v_add_f64 v[72:73], v[64:65], -v[52:53]
	v_add_f64 v[74:75], v[66:67], -v[54:55]
	;; [unrolled: 1-line block ×6, first 2 shown]
	v_add_f64 v[44:45], v[56:57], v[44:45]
	v_add_f64 v[46:47], v[58:59], v[46:47]
	v_add_f64 v[56:57], v[48:49], -v[56:57]
	v_add_f64 v[58:59], v[50:51], -v[58:59]
	;; [unrolled: 1-line block ×4, first 2 shown]
	v_add_f64 v[60:61], v[52:53], v[60:61]
	v_add_f64 v[62:63], v[54:55], v[62:63]
	v_add_f64 v[52:53], v[52:53], -v[68:69]
	v_add_f64 v[54:55], v[54:55], -v[70:71]
	v_mul_f64 v[72:73], v[72:73], s[8:9]
	v_mul_f64 v[74:75], v[74:75], s[8:9]
	;; [unrolled: 1-line block ×6, first 2 shown]
	v_add_f64 v[44:45], v[44:45], v[48:49]
	v_add_f64 v[46:47], v[46:47], v[50:51]
	;; [unrolled: 1-line block ×4, first 2 shown]
	v_mul_f64 v[68:69], v[52:53], s[2:3]
	v_mul_f64 v[70:71], v[54:55], s[2:3]
	v_fma_f64 v[48:49], v[52:53], s[2:3], v[72:73]
	v_fma_f64 v[50:51], v[54:55], s[2:3], v[74:75]
	;; [unrolled: 1-line block ×4, first 2 shown]
	v_fma_f64 v[56:57], v[56:57], s[26:27], -v[84:85]
	v_fma_f64 v[58:59], v[58:59], s[26:27], -v[86:87]
	;; [unrolled: 1-line block ×6, first 2 shown]
	v_fma_f64 v[60:61], v[60:61], s[16:17], v[40:41]
	v_fma_f64 v[62:63], v[62:63], s[16:17], v[42:43]
	v_fma_f64 v[64:65], v[64:65], s[20:21], -v[68:69]
	v_fma_f64 v[66:67], v[66:67], s[20:21], -v[70:71]
	v_fma_f64 v[68:69], v[44:45], s[28:29], v[52:53]
	v_fma_f64 v[70:71], v[46:47], s[28:29], v[54:55]
	;; [unrolled: 1-line block ×6, first 2 shown]
	v_mov_b32_e32 v44, 0x4d
	v_mul_u32_u24_sdwa v88, v88, v44 dst_sel:DWORD dst_unused:UNUSED_PAD src0_sel:WORD_0 src1_sel:DWORD
	v_add_f64 v[84:85], v[48:49], v[60:61]
	v_add_f64 v[86:87], v[50:51], v[62:63]
	;; [unrolled: 1-line block ×7, first 2 shown]
	v_add_f64 v[46:47], v[86:87], -v[68:69]
	v_add_f64 v[48:49], v[82:83], v[72:73]
	v_add_f64 v[50:51], v[74:75], -v[80:81]
	v_add_f64 v[52:53], v[56:57], -v[78:79]
	v_add_f64 v[54:55], v[76:77], v[58:59]
	v_add_f64 v[56:57], v[78:79], v[56:57]
	v_add_f64 v[58:59], v[58:59], -v[76:77]
	v_add_f64 v[60:61], v[72:73], -v[82:83]
	v_add_f64 v[62:63], v[80:81], v[74:75]
	v_add_f64 v[64:65], v[84:85], -v[70:71]
	v_add_f64 v[66:67], v[68:69], v[86:87]
	v_add_nc_u32_sdwa v68, v88, v89 dst_sel:DWORD dst_unused:UNUSED_PAD src0_sel:DWORD src1_sel:BYTE_0
	v_add_lshl_u32 v105, v185, v68, 4
	v_mad_u64_u32 v[68:69], null, 0x60, v181, s[0:1]
	ds_write_b128 v105, v[40:43]
	ds_write_b128 v105, v[44:47] offset:176
	ds_write_b128 v105, v[48:51] offset:352
	;; [unrolled: 1-line block ×6, first 2 shown]
	s_waitcnt lgkmcnt(0)
	s_barrier
	buffer_gl0_inv
	s_clause 0x5
	global_load_dwordx4 v[44:47], v[68:69], off offset:1056
	global_load_dwordx4 v[40:43], v[68:69], off offset:1072
	;; [unrolled: 1-line block ×6, first 2 shown]
	ds_read_b128 v[64:67], v103 offset:1232
	ds_read_b128 v[68:71], v103 offset:2464
	;; [unrolled: 1-line block ×6, first 2 shown]
	s_waitcnt vmcnt(5) lgkmcnt(5)
	v_mul_f64 v[88:89], v[66:67], v[46:47]
	v_mul_f64 v[90:91], v[64:65], v[46:47]
	s_waitcnt vmcnt(4) lgkmcnt(4)
	v_mul_f64 v[93:94], v[70:71], v[42:43]
	v_mul_f64 v[95:96], v[68:69], v[42:43]
	s_waitcnt vmcnt(3) lgkmcnt(3)
	v_mul_f64 v[97:98], v[74:75], v[50:51]
	v_mul_f64 v[99:100], v[72:73], v[50:51]
	s_waitcnt vmcnt(2) lgkmcnt(2)
	v_mul_f64 v[101:102], v[78:79], v[62:63]
	v_mul_f64 v[106:107], v[76:77], v[62:63]
	s_waitcnt vmcnt(1) lgkmcnt(1)
	v_mul_f64 v[108:109], v[82:83], v[58:59]
	v_mul_f64 v[110:111], v[80:81], v[58:59]
	s_waitcnt vmcnt(0) lgkmcnt(0)
	v_mul_f64 v[112:113], v[86:87], v[54:55]
	v_mul_f64 v[114:115], v[84:85], v[54:55]
	v_fma_f64 v[64:65], v[64:65], v[44:45], -v[88:89]
	v_fma_f64 v[66:67], v[66:67], v[44:45], v[90:91]
	v_fma_f64 v[68:69], v[68:69], v[40:41], -v[93:94]
	v_fma_f64 v[70:71], v[70:71], v[40:41], v[95:96]
	;; [unrolled: 2-line block ×6, first 2 shown]
	v_add_f64 v[88:89], v[64:65], v[72:73]
	v_add_f64 v[90:91], v[66:67], v[74:75]
	;; [unrolled: 1-line block ×4, first 2 shown]
	v_add_f64 v[68:69], v[68:69], -v[76:77]
	v_add_f64 v[70:71], v[70:71], -v[78:79]
	v_add_f64 v[76:77], v[80:81], v[84:85]
	v_add_f64 v[78:79], v[82:83], v[86:87]
	v_add_f64 v[80:81], v[84:85], -v[80:81]
	v_add_f64 v[82:83], v[86:87], -v[82:83]
	v_add_f64 v[72:73], v[64:65], -v[72:73]
	v_add_f64 v[74:75], v[66:67], -v[74:75]
	v_add_f64 v[64:65], v[93:94], v[88:89]
	v_add_f64 v[66:67], v[95:96], v[90:91]
	v_add_f64 v[84:85], v[88:89], -v[76:77]
	v_add_f64 v[86:87], v[90:91], -v[78:79]
	;; [unrolled: 1-line block ×6, first 2 shown]
	v_add_f64 v[68:69], v[80:81], v[68:69]
	v_add_f64 v[70:71], v[82:83], v[70:71]
	v_add_f64 v[80:81], v[72:73], -v[80:81]
	v_add_f64 v[82:83], v[74:75], -v[82:83]
	;; [unrolled: 1-line block ×4, first 2 shown]
	v_add_f64 v[108:109], v[76:77], v[64:65]
	v_add_f64 v[110:111], v[78:79], v[66:67]
	v_add_f64 v[76:77], v[76:77], -v[93:94]
	v_add_f64 v[78:79], v[78:79], -v[95:96]
	ds_read_b128 v[64:67], v103
	v_mul_f64 v[84:85], v[84:85], s[8:9]
	v_mul_f64 v[86:87], v[86:87], s[8:9]
	;; [unrolled: 1-line block ×6, first 2 shown]
	v_add_f64 v[68:69], v[68:69], v[72:73]
	v_add_f64 v[70:71], v[70:71], v[74:75]
	s_waitcnt lgkmcnt(0)
	v_add_f64 v[64:65], v[64:65], v[108:109]
	v_add_f64 v[66:67], v[66:67], v[110:111]
	v_mul_f64 v[93:94], v[76:77], s[2:3]
	v_mul_f64 v[95:96], v[78:79], s[2:3]
	v_fma_f64 v[72:73], v[76:77], s[2:3], v[84:85]
	v_fma_f64 v[74:75], v[78:79], s[2:3], v[86:87]
	;; [unrolled: 1-line block ×4, first 2 shown]
	v_fma_f64 v[97:98], v[101:102], s[10:11], -v[97:98]
	v_fma_f64 v[99:100], v[106:107], s[10:11], -v[99:100]
	;; [unrolled: 1-line block ×6, first 2 shown]
	v_fma_f64 v[101:102], v[108:109], s[16:17], v[64:65]
	v_fma_f64 v[106:107], v[110:111], s[16:17], v[66:67]
	v_fma_f64 v[88:89], v[88:89], s[20:21], -v[93:94]
	v_fma_f64 v[90:91], v[90:91], s[20:21], -v[95:96]
	v_fma_f64 v[93:94], v[68:69], s[28:29], v[76:77]
	v_fma_f64 v[95:96], v[70:71], s[28:29], v[78:79]
	;; [unrolled: 1-line block ×6, first 2 shown]
	v_add_f64 v[97:98], v[72:73], v[101:102]
	v_add_f64 v[99:100], v[74:75], v[106:107]
	;; [unrolled: 1-line block ×7, first 2 shown]
	v_add_f64 v[90:91], v[99:100], -v[93:94]
	v_add_f64 v[84:85], v[70:71], v[72:73]
	v_add_f64 v[86:87], v[74:75], -v[68:69]
	v_add_f64 v[80:81], v[101:102], -v[76:77]
	v_add_f64 v[82:83], v[78:79], v[106:107]
	v_add_f64 v[76:77], v[76:77], v[101:102]
	v_add_f64 v[78:79], v[106:107], -v[78:79]
	v_add_f64 v[72:73], v[72:73], -v[70:71]
	v_add_f64 v[74:75], v[68:69], v[74:75]
	v_add_f64 v[68:69], v[97:98], -v[95:96]
	v_add_f64 v[70:71], v[93:94], v[99:100]
	ds_write_b128 v104, v[64:67]
	ds_write_b128 v104, v[88:91] offset:1232
	ds_write_b128 v104, v[84:87] offset:2464
	;; [unrolled: 1-line block ×6, first 2 shown]
	s_waitcnt lgkmcnt(0)
	s_barrier
	buffer_gl0_inv
	s_and_saveexec_b32 s1, vcc_lo
	s_cbranch_execz .LBB0_9
; %bb.8:
	v_add_co_u32 v130, s0, s14, v182
	v_add_co_ci_u32_e64 v131, null, s15, 0, s0
	v_add_co_u32 v93, s0, 0x2000, v130
	v_add_co_ci_u32_e64 v94, s0, 0, v131, s0
	v_add_co_u32 v101, s0, 0x21b0, v130
	v_add_co_ci_u32_e64 v102, s0, 0, v131, s0
	;; [unrolled: 2-line block ×3, first 2 shown]
	v_add_co_u32 v126, s0, 0x3000, v130
	global_load_dwordx4 v[93:96], v[93:94], off offset:432
	v_add_co_ci_u32_e64 v127, s0, 0, v131, s0
	s_clause 0x6
	global_load_dwordx4 v[97:100], v[101:102], off offset:784
	global_load_dwordx4 v[106:109], v[101:102], off offset:1568
	;; [unrolled: 1-line block ×7, first 2 shown]
	v_add_co_u32 v101, s0, 0x3800, v130
	v_add_co_ci_u32_e64 v102, s0, 0, v131, s0
	v_add_co_u32 v138, s0, 0x4000, v130
	v_add_co_ci_u32_e64 v139, s0, 0, v131, s0
	s_clause 0x2
	global_load_dwordx4 v[130:133], v[101:102], off offset:560
	global_load_dwordx4 v[134:137], v[101:102], off offset:1344
	;; [unrolled: 1-line block ×3, first 2 shown]
	ds_read_b128 v[142:145], v104
	ds_read_b128 v[146:149], v104 offset:784
	ds_read_b128 v[150:153], v104 offset:1568
	;; [unrolled: 1-line block ×10, first 2 shown]
	s_waitcnt vmcnt(9) lgkmcnt(9)
	v_mul_f64 v[178:179], v[148:149], v[99:100]
	v_mul_f64 v[193:194], v[146:147], v[99:100]
	s_waitcnt vmcnt(8) lgkmcnt(8)
	v_mul_f64 v[195:196], v[152:153], v[108:109]
	v_mul_f64 v[101:102], v[144:145], v[95:96]
	;; [unrolled: 1-line block ×4, first 2 shown]
	s_waitcnt vmcnt(7) lgkmcnt(7)
	v_mul_f64 v[197:198], v[156:157], v[112:113]
	v_mul_f64 v[112:113], v[154:155], v[112:113]
	s_waitcnt vmcnt(6) lgkmcnt(6)
	v_mul_f64 v[199:200], v[160:161], v[116:117]
	v_mul_f64 v[116:117], v[158:159], v[116:117]
	;; [unrolled: 3-line block ×8, first 2 shown]
	v_fma_f64 v[140:141], v[150:151], v[106:107], -v[195:196]
	v_fma_f64 v[99:100], v[142:143], v[93:94], -v[101:102]
	v_fma_f64 v[101:102], v[144:145], v[93:94], v[95:96]
	v_fma_f64 v[93:94], v[146:147], v[97:98], -v[178:179]
	v_fma_f64 v[95:96], v[148:149], v[97:98], v[193:194]
	v_fma_f64 v[142:143], v[152:153], v[106:107], v[108:109]
	v_fma_f64 v[106:107], v[154:155], v[110:111], -v[197:198]
	v_fma_f64 v[108:109], v[156:157], v[110:111], v[112:113]
	v_fma_f64 v[110:111], v[158:159], v[114:115], -v[199:200]
	;; [unrolled: 2-line block ×8, first 2 shown]
	v_fma_f64 v[136:137], v[191:192], v[138:139], v[213:214]
	ds_write_b128 v104, v[99:102]
	ds_write_b128 v104, v[93:96] offset:784
	ds_write_b128 v104, v[140:143] offset:1568
	;; [unrolled: 1-line block ×10, first 2 shown]
.LBB0_9:
	s_or_b32 exec_lo, exec_lo, s1
	s_waitcnt lgkmcnt(0)
	s_barrier
	buffer_gl0_inv
	s_and_saveexec_b32 s0, vcc_lo
	s_cbranch_execz .LBB0_11
; %bb.10:
	ds_read_b128 v[64:67], v104
	ds_read_b128 v[88:91], v104 offset:784
	ds_read_b128 v[84:87], v104 offset:1568
	;; [unrolled: 1-line block ×10, first 2 shown]
.LBB0_11:
	s_or_b32 exec_lo, exec_lo, s0
	s_waitcnt lgkmcnt(0)
	s_barrier
	buffer_gl0_inv
	s_and_saveexec_b32 s33, vcc_lo
	s_cbranch_execz .LBB0_13
; %bb.12:
	v_add_f64 v[106:107], v[88:89], -v[0:1]
	v_add_f64 v[108:109], v[90:91], -v[2:3]
	s_mov_b32 s16, 0xfd768dbf
	s_mov_b32 s17, 0xbfd207e7
	v_add_f64 v[112:113], v[84:85], -v[4:5]
	v_add_f64 v[114:115], v[90:91], v[2:3]
	v_add_f64 v[116:117], v[86:87], -v[6:7]
	v_add_f64 v[118:119], v[88:89], v[0:1]
	s_mov_b32 s22, 0xbb3a28a1
	s_mov_b32 s18, 0xf8bb580b
	;; [unrolled: 1-line block ×6, first 2 shown]
	v_add_f64 v[124:125], v[80:81], -v[8:9]
	v_add_f64 v[128:129], v[86:87], v[6:7]
	v_add_f64 v[132:133], v[82:83], -v[10:11]
	v_add_f64 v[134:135], v[84:85], v[4:5]
	s_mov_b32 s24, 0x43842ef
	s_mov_b32 s10, 0x7f775887
	s_mov_b32 s2, 0x8764f0ba
	s_mov_b32 s25, 0xbfefac9e
	v_mul_f64 v[120:121], v[106:107], s[16:17]
	v_mul_f64 v[122:123], v[108:109], s[16:17]
	;; [unrolled: 1-line block ×3, first 2 shown]
	s_mov_b32 s11, 0xbfe4f49e
	v_mul_f64 v[136:137], v[112:113], s[18:19]
	s_mov_b32 s3, 0x3feaeb8c
	v_mul_f64 v[138:139], v[116:117], s[18:19]
	s_mov_b32 s29, 0x3fefac9e
	s_mov_b32 s28, s24
	v_add_f64 v[110:111], v[76:77], -v[12:13]
	v_add_f64 v[126:127], v[82:83], v[10:11]
	v_add_f64 v[144:145], v[78:79], -v[14:15]
	v_add_f64 v[146:147], v[80:81], v[8:9]
	v_mul_f64 v[156:157], v[108:109], s[22:23]
	v_mul_f64 v[152:153], v[124:125], s[22:23]
	;; [unrolled: 1-line block ×6, first 2 shown]
	s_mov_b32 s8, 0x640f44db
	s_mov_b32 s9, 0xbfc2375f
	;; [unrolled: 1-line block ×3, first 2 shown]
	v_fma_f64 v[140:141], v[114:115], s[0:1], v[120:121]
	v_fma_f64 v[142:143], v[118:119], s[0:1], -v[122:123]
	v_fma_f64 v[120:121], v[114:115], s[0:1], -v[120:121]
	v_fma_f64 v[122:123], v[118:119], s[0:1], v[122:123]
	v_fma_f64 v[158:159], v[128:129], s[2:3], v[136:137]
	v_fma_f64 v[136:137], v[128:129], s[2:3], -v[136:137]
	v_fma_f64 v[160:161], v[134:135], s[2:3], -v[138:139]
	v_fma_f64 v[138:139], v[134:135], s[2:3], v[138:139]
	v_fma_f64 v[178:179], v[114:115], s[10:11], v[148:149]
	s_mov_b32 s26, 0x8eee2c13
	s_mov_b32 s31, 0xbfe14ced
	;; [unrolled: 1-line block ×5, first 2 shown]
	v_add_f64 v[97:98], v[78:79], v[14:15]
	v_add_f64 v[130:131], v[74:75], -v[70:71]
	v_add_f64 v[101:102], v[76:77], v[12:13]
	v_add_f64 v[90:91], v[66:67], v[90:91]
	;; [unrolled: 1-line block ×3, first 2 shown]
	v_mul_f64 v[162:163], v[110:111], s[26:27]
	v_mul_f64 v[166:167], v[144:145], s[26:27]
	;; [unrolled: 1-line block ×3, first 2 shown]
	v_add_f64 v[140:141], v[66:67], v[140:141]
	v_add_f64 v[142:143], v[64:65], v[142:143]
	;; [unrolled: 1-line block ×4, first 2 shown]
	v_mul_f64 v[187:188], v[116:117], s[28:29]
	v_fma_f64 v[191:192], v[126:127], s[10:11], v[152:153]
	v_fma_f64 v[193:194], v[146:147], s[10:11], -v[154:155]
	v_fma_f64 v[152:153], v[126:127], s[10:11], -v[152:153]
	;; [unrolled: 1-line block ×4, first 2 shown]
	v_fma_f64 v[154:155], v[146:147], s[10:11], v[154:155]
	v_fma_f64 v[156:157], v[118:119], s[10:11], v[156:157]
	v_mul_f64 v[197:198], v[116:117], s[34:35]
	v_fma_f64 v[199:200], v[114:115], s[8:9], v[174:175]
	v_fma_f64 v[201:202], v[128:129], s[8:9], v[176:177]
	v_add_f64 v[178:179], v[66:67], v[178:179]
	v_fma_f64 v[207:208], v[118:119], s[8:9], -v[189:190]
	s_mov_b32 s20, 0xd9c712b6
	s_mov_b32 s21, 0x3fda9628
	v_add_f64 v[95:96], v[72:73], v[68:69]
	v_mul_f64 v[164:165], v[130:131], s[24:25]
	v_fma_f64 v[203:204], v[97:98], s[20:21], v[162:163]
	v_add_f64 v[140:141], v[158:159], v[140:141]
	v_add_f64 v[142:143], v[160:161], v[142:143]
	;; [unrolled: 1-line block ×4, first 2 shown]
	v_mul_f64 v[138:139], v[112:113], s[34:35]
	v_mul_f64 v[158:159], v[124:125], s[26:27]
	;; [unrolled: 1-line block ×3, first 2 shown]
	v_fma_f64 v[205:206], v[101:102], s[20:21], -v[166:167]
	v_fma_f64 v[162:163], v[97:98], s[20:21], -v[162:163]
	;; [unrolled: 1-line block ×4, first 2 shown]
	v_add_f64 v[148:149], v[66:67], v[148:149]
	v_add_f64 v[86:87], v[90:91], v[86:87]
	v_fma_f64 v[90:91], v[101:102], s[20:21], v[166:167]
	v_add_f64 v[156:157], v[64:65], v[156:157]
	v_add_f64 v[84:85], v[88:89], v[84:85]
	;; [unrolled: 1-line block ×5, first 2 shown]
	v_add_f64 v[99:100], v[72:73], -v[68:69]
	v_mul_f64 v[170:171], v[110:111], s[16:17]
	v_mul_f64 v[185:186], v[144:145], s[16:17]
	v_add_f64 v[140:141], v[191:192], v[140:141]
	v_add_f64 v[142:143], v[193:194], v[142:143]
	;; [unrolled: 1-line block ×3, first 2 shown]
	v_fma_f64 v[152:153], v[134:135], s[8:9], v[187:188]
	v_add_f64 v[122:123], v[154:155], v[122:123]
	v_fma_f64 v[154:155], v[128:129], s[0:1], v[138:139]
	v_fma_f64 v[187:188], v[126:127], s[2:3], v[172:173]
	v_fma_f64 v[193:194], v[134:135], s[0:1], -v[197:198]
	v_fma_f64 v[191:192], v[95:96], s[8:9], -v[164:165]
	;; [unrolled: 1-line block ×3, first 2 shown]
	v_add_f64 v[93:94], v[74:75], v[70:71]
	v_add_f64 v[148:149], v[176:177], v[148:149]
	v_add_f64 v[82:83], v[86:87], v[82:83]
	v_fma_f64 v[138:139], v[128:129], s[0:1], -v[138:139]
	v_mul_f64 v[136:137], v[132:133], s[30:31]
	v_add_f64 v[80:81], v[84:85], v[80:81]
	v_add_f64 v[195:196], v[64:65], v[195:196]
	v_mul_f64 v[168:169], v[99:100], s[26:27]
	v_fma_f64 v[84:85], v[97:98], s[0:1], -v[170:171]
	v_mul_f64 v[150:151], v[99:100], s[24:25]
	v_add_f64 v[140:141], v[203:204], v[140:141]
	v_fma_f64 v[203:204], v[101:102], s[0:1], -v[185:186]
	v_add_f64 v[120:121], v[162:163], v[120:121]
	v_fma_f64 v[162:163], v[95:96], s[8:9], v[164:165]
	v_fma_f64 v[164:165], v[114:115], s[8:9], -v[174:175]
	v_add_f64 v[152:153], v[152:153], v[156:157]
	v_fma_f64 v[156:157], v[118:119], s[8:9], v[189:190]
	v_fma_f64 v[174:175], v[126:127], s[20:21], v[158:159]
	v_add_f64 v[154:155], v[154:155], v[166:167]
	v_add_f64 v[176:177], v[187:188], v[178:179]
	v_mul_f64 v[187:188], v[144:145], s[30:31]
	v_fma_f64 v[189:190], v[146:147], s[20:21], -v[160:161]
	v_add_f64 v[193:194], v[193:194], v[199:200]
	v_mul_f64 v[199:200], v[130:131], s[26:27]
	s_mov_b32 s27, 0xbfed1bb4
	v_fma_f64 v[166:167], v[97:98], s[0:1], v[170:171]
	v_add_f64 v[86:87], v[172:173], v[148:149]
	v_fma_f64 v[148:149], v[101:102], s[0:1], v[185:186]
	v_fma_f64 v[170:171], v[134:135], s[0:1], v[197:198]
	v_add_f64 v[78:79], v[82:83], v[78:79]
	v_add_f64 v[76:77], v[80:81], v[76:77]
	v_mul_f64 v[80:81], v[108:109], s[30:31]
	v_mul_f64 v[82:83], v[108:109], s[26:27]
	v_fma_f64 v[178:179], v[93:94], s[20:21], v[168:169]
	v_fma_f64 v[108:109], v[93:94], s[20:21], -v[168:169]
	v_fma_f64 v[160:161], v[146:147], s[20:21], v[160:161]
	v_add_f64 v[164:165], v[66:67], v[164:165]
	v_fma_f64 v[158:159], v[126:127], s[20:21], -v[158:159]
	v_add_f64 v[156:157], v[64:65], v[156:157]
	v_add_f64 v[90:91], v[90:91], v[122:123]
	;; [unrolled: 1-line block ×3, first 2 shown]
	v_mul_f64 v[174:175], v[106:107], s[26:27]
	v_fma_f64 v[185:186], v[101:102], s[2:3], -v[187:188]
	v_mul_f64 v[106:107], v[106:107], s[30:31]
	v_add_f64 v[189:190], v[189:190], v[193:194]
	v_fma_f64 v[193:194], v[95:96], s[20:21], -v[199:200]
	v_mul_f64 v[122:123], v[110:111], s[30:31]
	v_fma_f64 v[201:202], v[146:147], s[2:3], -v[136:137]
	v_add_f64 v[84:85], v[84:85], v[86:87]
	v_fma_f64 v[86:87], v[95:96], s[20:21], v[199:200]
	v_fma_f64 v[136:137], v[146:147], s[2:3], v[136:137]
	v_add_f64 v[74:75], v[78:79], v[74:75]
	v_add_f64 v[72:73], v[76:77], v[72:73]
	v_fma_f64 v[76:77], v[118:119], s[2:3], v[80:81]
	v_fma_f64 v[78:79], v[118:119], s[20:21], v[82:83]
	v_fma_f64 v[82:83], v[118:119], s[20:21], -v[82:83]
	v_fma_f64 v[80:81], v[118:119], s[2:3], -v[80:81]
	v_mul_f64 v[118:119], v[124:125], s[34:35]
	v_add_f64 v[138:139], v[138:139], v[164:165]
	v_mul_f64 v[164:165], v[112:113], s[22:23]
	v_add_f64 v[156:157], v[170:171], v[156:157]
	v_mul_f64 v[112:113], v[112:113], s[26:27]
	v_mul_f64 v[170:171], v[116:117], s[22:23]
	v_fma_f64 v[168:169], v[114:115], s[20:21], -v[174:175]
	v_mul_f64 v[116:117], v[116:117], s[26:27]
	v_fma_f64 v[174:175], v[114:115], s[20:21], v[174:175]
	v_add_f64 v[185:186], v[185:186], v[189:190]
	v_fma_f64 v[189:190], v[114:115], s[2:3], -v[106:107]
	v_fma_f64 v[106:107], v[114:115], s[2:3], v[106:107]
	v_mul_f64 v[124:125], v[124:125], s[24:25]
	v_add_f64 v[195:196], v[209:210], v[195:196]
	v_fma_f64 v[172:173], v[97:98], s[2:3], v[122:123]
	v_fma_f64 v[122:123], v[97:98], s[2:3], -v[122:123]
	v_add_f64 v[70:71], v[74:75], v[70:71]
	v_add_f64 v[68:69], v[72:73], v[68:69]
	;; [unrolled: 1-line block ×6, first 2 shown]
	v_mul_f64 v[80:81], v[110:111], s[28:29]
	v_add_f64 v[138:139], v[158:159], v[138:139]
	v_fma_f64 v[158:159], v[101:102], s[2:3], v[187:188]
	v_add_f64 v[114:115], v[160:161], v[156:157]
	v_fma_f64 v[160:161], v[128:129], s[10:11], -v[164:165]
	v_fma_f64 v[197:198], v[128:129], s[20:21], -v[112:113]
	v_add_f64 v[168:169], v[66:67], v[168:169]
	v_mul_f64 v[156:157], v[132:133], s[34:35]
	v_mul_f64 v[132:133], v[132:133], s[24:25]
	v_fma_f64 v[199:200], v[134:135], s[20:21], v[116:117]
	v_add_f64 v[189:190], v[66:67], v[189:190]
	v_fma_f64 v[187:188], v[134:135], s[10:11], v[170:171]
	v_fma_f64 v[76:77], v[128:129], s[10:11], v[164:165]
	v_add_f64 v[78:79], v[66:67], v[174:175]
	v_fma_f64 v[164:165], v[134:135], s[10:11], -v[170:171]
	v_fma_f64 v[112:113], v[128:129], s[20:21], v[112:113]
	v_add_f64 v[66:67], v[66:67], v[106:107]
	v_fma_f64 v[106:107], v[134:135], s[20:21], -v[116:117]
	v_fma_f64 v[128:129], v[126:127], s[0:1], -v[118:119]
	v_mul_f64 v[110:111], v[110:111], s[22:23]
	v_add_f64 v[14:15], v[70:71], v[14:15]
	v_add_f64 v[12:13], v[68:69], v[12:13]
	v_mul_f64 v[116:117], v[144:145], s[28:29]
	v_mul_f64 v[144:145], v[144:145], s[22:23]
	v_add_f64 v[136:137], v[136:137], v[152:153]
	v_mul_f64 v[152:153], v[99:100], s[22:23]
	v_add_f64 v[166:167], v[166:167], v[176:177]
	;; [unrolled: 2-line block ×3, first 2 shown]
	v_fma_f64 v[168:169], v[126:127], s[8:9], -v[124:125]
	v_fma_f64 v[174:175], v[146:147], s[8:9], v[132:133]
	v_add_f64 v[68:69], v[199:200], v[72:73]
	v_add_f64 v[170:171], v[197:198], v[189:190]
	v_fma_f64 v[160:161], v[146:147], s[0:1], v[156:157]
	v_add_f64 v[70:71], v[187:188], v[74:75]
	v_fma_f64 v[72:73], v[126:127], s[0:1], v[118:119]
	v_add_f64 v[74:75], v[76:77], v[78:79]
	v_fma_f64 v[76:77], v[146:147], s[0:1], -v[156:157]
	v_add_f64 v[78:79], v[164:165], v[82:83]
	v_fma_f64 v[82:83], v[126:127], s[8:9], v[124:125]
	v_add_f64 v[66:67], v[112:113], v[66:67]
	v_fma_f64 v[112:113], v[146:147], s[8:9], -v[132:133]
	v_add_f64 v[64:65], v[106:107], v[64:65]
	v_fma_f64 v[124:125], v[97:98], s[8:9], -v[80:81]
	v_fma_f64 v[132:133], v[97:98], s[10:11], -v[110:111]
	v_add_f64 v[10:11], v[14:15], v[10:11]
	v_add_f64 v[8:9], v[12:13], v[8:9]
	v_mul_f64 v[106:107], v[99:100], s[18:19]
	v_mul_f64 v[118:119], v[130:131], s[18:19]
	;; [unrolled: 1-line block ×3, first 2 shown]
	v_add_f64 v[126:127], v[128:129], v[134:135]
	v_mul_f64 v[130:131], v[130:131], s[16:17]
	v_fma_f64 v[146:147], v[101:102], s[10:11], v[144:145]
	v_add_f64 v[12:13], v[174:175], v[68:69]
	v_add_f64 v[134:135], v[168:169], v[170:171]
	v_fma_f64 v[128:129], v[101:102], s[8:9], v[116:117]
	v_add_f64 v[14:15], v[160:161], v[70:71]
	v_add_f64 v[195:196], v[201:202], v[195:196]
	v_fma_f64 v[68:69], v[97:98], s[8:9], v[80:81]
	v_add_f64 v[70:71], v[72:73], v[74:75]
	v_fma_f64 v[72:73], v[101:102], s[8:9], -v[116:117]
	v_add_f64 v[74:75], v[76:77], v[78:79]
	v_fma_f64 v[76:77], v[97:98], s[10:11], v[110:111]
	v_add_f64 v[66:67], v[82:83], v[66:67]
	v_fma_f64 v[78:79], v[101:102], s[10:11], -v[144:145]
	v_add_f64 v[64:65], v[112:113], v[64:65]
	v_add_f64 v[82:83], v[122:123], v[138:139]
	;; [unrolled: 1-line block ×3, first 2 shown]
	v_fma_f64 v[80:81], v[93:94], s[10:11], -v[152:153]
	v_fma_f64 v[110:111], v[93:94], s[2:3], -v[106:107]
	v_fma_f64 v[114:115], v[95:96], s[2:3], v[118:119]
	v_fma_f64 v[116:117], v[93:94], s[0:1], -v[99:100]
	v_add_f64 v[112:113], v[124:125], v[126:127]
	v_add_f64 v[126:127], v[10:11], v[6:7]
	v_fma_f64 v[124:125], v[95:96], s[0:1], v[130:131]
	v_fma_f64 v[97:98], v[95:96], s[10:11], v[176:177]
	v_add_f64 v[122:123], v[132:133], v[134:135]
	v_add_f64 v[132:133], v[8:9], v[4:5]
	;; [unrolled: 1-line block ×5, first 2 shown]
	v_fma_f64 v[88:89], v[93:94], s[8:9], v[150:151]
	v_fma_f64 v[150:151], v[93:94], s[8:9], -v[150:151]
	v_add_f64 v[142:143], v[205:206], v[142:143]
	v_add_f64 v[195:196], v[203:204], v[195:196]
	v_fma_f64 v[148:149], v[93:94], s[10:11], v[152:153]
	v_add_f64 v[154:155], v[172:173], v[154:155]
	v_fma_f64 v[172:173], v[95:96], s[10:11], -v[176:177]
	v_fma_f64 v[106:107], v[93:94], s[2:3], v[106:107]
	v_add_f64 v[138:139], v[68:69], v[70:71]
	v_fma_f64 v[118:119], v[95:96], s[2:3], -v[118:119]
	v_add_f64 v[144:145], v[72:73], v[74:75]
	v_fma_f64 v[93:94], v[93:94], s[0:1], v[99:100]
	v_add_f64 v[99:100], v[76:77], v[66:67]
	v_fma_f64 v[95:96], v[95:96], s[0:1], -v[130:131]
	v_add_f64 v[130:131], v[78:79], v[64:65]
	v_add_f64 v[2:3], v[126:127], v[2:3]
	;; [unrolled: 1-line block ×23, first 2 shown]
	v_and_b32_e32 v93, 0xffff, v184
	v_lshl_add_u32 v93, v93, 4, v183
	ds_write_b128 v93, v[0:3]
	ds_write_b128 v93, v[76:79] offset:16
	ds_write_b128 v93, v[72:75] offset:32
	ds_write_b128 v93, v[68:71] offset:48
	ds_write_b128 v93, v[64:67] offset:64
	ds_write_b128 v93, v[8:11] offset:80
	ds_write_b128 v93, v[4:7] offset:96
	ds_write_b128 v93, v[12:15] offset:112
	ds_write_b128 v93, v[80:83] offset:128
	ds_write_b128 v93, v[84:87] offset:144
	ds_write_b128 v93, v[88:91] offset:160
.LBB0_13:
	s_or_b32 exec_lo, exec_lo, s33
	s_waitcnt lgkmcnt(0)
	s_barrier
	buffer_gl0_inv
	ds_read_b128 v[0:3], v103 offset:1232
	ds_read_b128 v[4:7], v103 offset:2464
	;; [unrolled: 1-line block ×6, first 2 shown]
	s_mov_b32 s2, 0x37e14327
	s_mov_b32 s16, 0xe976ee23
	;; [unrolled: 1-line block ×14, first 2 shown]
	s_waitcnt lgkmcnt(5)
	v_mul_f64 v[72:73], v[22:23], v[2:3]
	v_mul_f64 v[22:23], v[22:23], v[0:1]
	s_waitcnt lgkmcnt(4)
	v_mul_f64 v[74:75], v[18:19], v[6:7]
	v_mul_f64 v[18:19], v[18:19], v[4:5]
	;; [unrolled: 3-line block ×6, first 2 shown]
	s_mov_b32 s21, 0xbfe77f67
	s_mov_b32 s25, 0x3fd5d0dc
	;; [unrolled: 1-line block ×6, first 2 shown]
	v_fma_f64 v[0:1], v[20:21], v[0:1], v[72:73]
	v_fma_f64 v[2:3], v[20:21], v[2:3], -v[22:23]
	v_fma_f64 v[4:5], v[16:17], v[4:5], v[74:75]
	v_fma_f64 v[6:7], v[16:17], v[6:7], -v[18:19]
	;; [unrolled: 2-line block ×6, first 2 shown]
	v_add_f64 v[24:25], v[0:1], v[8:9]
	v_add_f64 v[26:27], v[2:3], v[10:11]
	;; [unrolled: 1-line block ×4, first 2 shown]
	v_add_f64 v[4:5], v[4:5], -v[12:13]
	v_add_f64 v[6:7], v[6:7], -v[14:15]
	v_add_f64 v[12:13], v[16:17], v[20:21]
	v_add_f64 v[14:15], v[18:19], v[22:23]
	v_add_f64 v[16:17], v[20:21], -v[16:17]
	v_add_f64 v[18:19], v[22:23], -v[18:19]
	;; [unrolled: 1-line block ×4, first 2 shown]
	ds_read_b128 v[0:3], v103
	s_waitcnt lgkmcnt(0)
	s_barrier
	buffer_gl0_inv
	v_add_f64 v[20:21], v[28:29], v[24:25]
	v_add_f64 v[22:23], v[30:31], v[26:27]
	v_add_f64 v[32:33], v[24:25], -v[12:13]
	v_add_f64 v[34:35], v[26:27], -v[14:15]
	;; [unrolled: 1-line block ×6, first 2 shown]
	v_add_f64 v[4:5], v[16:17], v[4:5]
	v_add_f64 v[6:7], v[18:19], v[6:7]
	v_add_f64 v[16:17], v[8:9], -v[16:17]
	v_add_f64 v[18:19], v[10:11], -v[18:19]
	;; [unrolled: 1-line block ×4, first 2 shown]
	v_add_f64 v[20:21], v[12:13], v[20:21]
	v_add_f64 v[22:23], v[14:15], v[22:23]
	v_add_f64 v[12:13], v[12:13], -v[28:29]
	v_add_f64 v[14:15], v[14:15], -v[30:31]
	v_mul_f64 v[32:33], v[32:33], s[2:3]
	v_mul_f64 v[34:35], v[34:35], s[2:3]
	;; [unrolled: 1-line block ×6, first 2 shown]
	v_add_f64 v[4:5], v[4:5], v[8:9]
	v_add_f64 v[6:7], v[6:7], v[10:11]
	v_add_f64 v[0:1], v[0:1], v[20:21]
	v_add_f64 v[2:3], v[2:3], v[22:23]
	v_mul_f64 v[28:29], v[12:13], s[0:1]
	v_mul_f64 v[30:31], v[14:15], s[0:1]
	v_fma_f64 v[8:9], v[12:13], s[0:1], v[32:33]
	v_fma_f64 v[10:11], v[14:15], s[0:1], v[34:35]
	;; [unrolled: 1-line block ×4, first 2 shown]
	v_fma_f64 v[16:17], v[16:17], s[24:25], -v[68:69]
	v_fma_f64 v[18:19], v[18:19], s[24:25], -v[70:71]
	;; [unrolled: 1-line block ×6, first 2 shown]
	v_fma_f64 v[20:21], v[20:21], s[10:11], v[0:1]
	v_fma_f64 v[22:23], v[22:23], s[10:11], v[2:3]
	v_fma_f64 v[24:25], v[24:25], s[18:19], -v[28:29]
	v_fma_f64 v[26:27], v[26:27], s[18:19], -v[30:31]
	v_fma_f64 v[28:29], v[4:5], s[26:27], v[12:13]
	v_fma_f64 v[30:31], v[6:7], s[26:27], v[14:15]
	;; [unrolled: 1-line block ×6, first 2 shown]
	v_add_f64 v[68:69], v[8:9], v[20:21]
	v_add_f64 v[70:71], v[10:11], v[22:23]
	;; [unrolled: 1-line block ×7, first 2 shown]
	v_add_f64 v[6:7], v[70:71], -v[28:29]
	v_add_f64 v[8:9], v[66:67], v[32:33]
	v_add_f64 v[10:11], v[34:35], -v[64:65]
	v_add_f64 v[12:13], v[16:17], -v[38:39]
	v_add_f64 v[14:15], v[36:37], v[18:19]
	v_add_f64 v[16:17], v[38:39], v[16:17]
	v_add_f64 v[18:19], v[18:19], -v[36:37]
	v_add_f64 v[20:21], v[32:33], -v[66:67]
	v_add_f64 v[22:23], v[64:65], v[34:35]
	v_add_f64 v[24:25], v[68:69], -v[30:31]
	v_add_f64 v[26:27], v[28:29], v[70:71]
	ds_write_b128 v105, v[0:3]
	ds_write_b128 v105, v[4:7] offset:176
	ds_write_b128 v105, v[8:11] offset:352
	;; [unrolled: 1-line block ×6, first 2 shown]
	s_waitcnt lgkmcnt(0)
	s_barrier
	buffer_gl0_inv
	ds_read_b128 v[0:3], v103 offset:1232
	ds_read_b128 v[4:7], v103 offset:2464
	;; [unrolled: 1-line block ×6, first 2 shown]
	s_waitcnt lgkmcnt(5)
	v_mul_f64 v[24:25], v[46:47], v[2:3]
	v_mul_f64 v[26:27], v[46:47], v[0:1]
	s_waitcnt lgkmcnt(4)
	v_mul_f64 v[28:29], v[42:43], v[6:7]
	v_mul_f64 v[30:31], v[42:43], v[4:5]
	;; [unrolled: 3-line block ×6, first 2 shown]
	v_fma_f64 v[0:1], v[44:45], v[0:1], v[24:25]
	v_fma_f64 v[2:3], v[44:45], v[2:3], -v[26:27]
	v_fma_f64 v[4:5], v[40:41], v[4:5], v[28:29]
	v_fma_f64 v[6:7], v[40:41], v[6:7], -v[30:31]
	;; [unrolled: 2-line block ×6, first 2 shown]
	v_add_f64 v[24:25], v[0:1], v[8:9]
	v_add_f64 v[26:27], v[2:3], v[10:11]
	;; [unrolled: 1-line block ×4, first 2 shown]
	v_add_f64 v[4:5], v[4:5], -v[12:13]
	v_add_f64 v[6:7], v[6:7], -v[14:15]
	v_add_f64 v[12:13], v[16:17], v[20:21]
	v_add_f64 v[14:15], v[18:19], v[22:23]
	v_add_f64 v[16:17], v[20:21], -v[16:17]
	v_add_f64 v[18:19], v[22:23], -v[18:19]
	;; [unrolled: 1-line block ×4, first 2 shown]
	v_add_f64 v[0:1], v[28:29], v[24:25]
	v_add_f64 v[2:3], v[30:31], v[26:27]
	v_add_f64 v[20:21], v[24:25], -v[12:13]
	v_add_f64 v[22:23], v[26:27], -v[14:15]
	;; [unrolled: 1-line block ×6, first 2 shown]
	v_add_f64 v[4:5], v[16:17], v[4:5]
	v_add_f64 v[6:7], v[18:19], v[6:7]
	v_add_f64 v[16:17], v[8:9], -v[16:17]
	v_add_f64 v[18:19], v[10:11], -v[18:19]
	;; [unrolled: 1-line block ×4, first 2 shown]
	v_add_f64 v[40:41], v[12:13], v[0:1]
	v_add_f64 v[42:43], v[14:15], v[2:3]
	ds_read_b128 v[0:3], v103
	v_add_f64 v[12:13], v[12:13], -v[28:29]
	v_add_f64 v[14:15], v[14:15], -v[30:31]
	v_mul_f64 v[20:21], v[20:21], s[2:3]
	v_mul_f64 v[22:23], v[22:23], s[2:3]
	;; [unrolled: 1-line block ×6, first 2 shown]
	v_add_f64 v[4:5], v[4:5], v[8:9]
	v_add_f64 v[6:7], v[6:7], v[10:11]
	s_waitcnt lgkmcnt(0)
	v_add_f64 v[0:1], v[0:1], v[40:41]
	v_add_f64 v[2:3], v[2:3], v[42:43]
	v_mul_f64 v[28:29], v[12:13], s[0:1]
	v_mul_f64 v[30:31], v[14:15], s[0:1]
	v_fma_f64 v[8:9], v[12:13], s[0:1], v[20:21]
	v_fma_f64 v[10:11], v[14:15], s[0:1], v[22:23]
	;; [unrolled: 1-line block ×4, first 2 shown]
	v_fma_f64 v[32:33], v[36:37], s[8:9], -v[32:33]
	v_fma_f64 v[34:35], v[38:39], s[8:9], -v[34:35]
	;; [unrolled: 1-line block ×6, first 2 shown]
	v_fma_f64 v[36:37], v[40:41], s[10:11], v[0:1]
	v_fma_f64 v[38:39], v[42:43], s[10:11], v[2:3]
	v_fma_f64 v[24:25], v[24:25], s[18:19], -v[28:29]
	v_fma_f64 v[26:27], v[26:27], s[18:19], -v[30:31]
	v_fma_f64 v[28:29], v[4:5], s[26:27], v[12:13]
	v_fma_f64 v[30:31], v[6:7], s[26:27], v[14:15]
	v_fma_f64 v[32:33], v[4:5], s[26:27], v[32:33]
	v_fma_f64 v[34:35], v[6:7], s[26:27], v[34:35]
	v_fma_f64 v[40:41], v[4:5], s[26:27], v[16:17]
	v_fma_f64 v[42:43], v[6:7], s[26:27], v[18:19]
	v_add_f64 v[44:45], v[8:9], v[36:37]
	v_add_f64 v[46:47], v[10:11], v[38:39]
	;; [unrolled: 1-line block ×7, first 2 shown]
	v_add_f64 v[6:7], v[46:47], -v[28:29]
	v_add_f64 v[8:9], v[42:43], v[20:21]
	v_add_f64 v[10:11], v[22:23], -v[40:41]
	v_add_f64 v[12:13], v[16:17], -v[34:35]
	v_add_f64 v[14:15], v[32:33], v[18:19]
	v_add_f64 v[16:17], v[34:35], v[16:17]
	v_add_f64 v[18:19], v[18:19], -v[32:33]
	v_add_f64 v[20:21], v[20:21], -v[42:43]
	v_add_f64 v[22:23], v[40:41], v[22:23]
	v_add_f64 v[24:25], v[44:45], -v[30:31]
	v_add_f64 v[26:27], v[28:29], v[46:47]
	ds_write_b128 v104, v[0:3]
	ds_write_b128 v104, v[4:7] offset:1232
	ds_write_b128 v104, v[8:11] offset:2464
	;; [unrolled: 1-line block ×6, first 2 shown]
	s_waitcnt lgkmcnt(0)
	s_barrier
	buffer_gl0_inv
	s_and_b32 exec_lo, exec_lo, vcc_lo
	s_cbranch_execz .LBB0_15
; %bb.14:
	v_add_co_u32 v24, s0, s14, v182
	v_add_co_ci_u32_e64 v25, null, s15, 0, s0
	v_mad_u64_u32 v[44:45], null, s6, v92, 0
	v_add_co_u32 v20, vcc_lo, 0x800, v24
	v_add_co_ci_u32_e32 v21, vcc_lo, 0, v25, vcc_lo
	v_add_co_u32 v28, vcc_lo, 0x1000, v24
	v_add_co_ci_u32_e32 v29, vcc_lo, 0, v25, vcc_lo
	s_clause 0x5
	global_load_dwordx4 v[0:3], v182, s[14:15]
	global_load_dwordx4 v[4:7], v182, s[14:15] offset:784
	global_load_dwordx4 v[8:11], v182, s[14:15] offset:1568
	global_load_dwordx4 v[12:15], v[20:21], off offset:304
	global_load_dwordx4 v[16:19], v[20:21], off offset:1088
	;; [unrolled: 1-line block ×3, first 2 shown]
	v_add_co_u32 v40, vcc_lo, 0x1800, v24
	v_add_co_ci_u32_e32 v41, vcc_lo, 0, v25, vcc_lo
	s_clause 0x4
	global_load_dwordx4 v[24:27], v[28:29], off offset:608
	global_load_dwordx4 v[28:31], v[28:29], off offset:1392
	;; [unrolled: 1-line block ×5, first 2 shown]
	v_mad_u64_u32 v[46:47], null, s4, v181, 0
	s_mul_i32 s2, s5, 0x310
	s_mul_hi_u32 s3, s4, 0x310
	s_mulk_i32 s4, 0x310
	s_add_i32 s3, s3, s2
	s_mov_b32 s0, 0xdbe74d6b
	s_mov_b32 s1, 0x3f5e65a3
	v_mad_u64_u32 v[48:49], null, s7, v92, v[45:46]
	v_mad_u64_u32 v[49:50], null, s5, v181, v[47:48]
	v_mov_b32_e32 v45, v48
	v_lshlrev_b64 v[44:45], 4, v[44:45]
	v_mov_b32_e32 v47, v49
	v_lshlrev_b64 v[46:47], 4, v[46:47]
	v_add_co_u32 v44, vcc_lo, s12, v44
	v_add_co_ci_u32_e32 v45, vcc_lo, s13, v45, vcc_lo
	v_add_co_u32 v88, vcc_lo, v44, v46
	v_add_co_ci_u32_e32 v89, vcc_lo, v45, v47, vcc_lo
	ds_read_b128 v[44:47], v104
	ds_read_b128 v[48:51], v104 offset:784
	ds_read_b128 v[52:55], v104 offset:1568
	;; [unrolled: 1-line block ×10, first 2 shown]
	v_add_co_u32 v90, vcc_lo, v88, s4
	v_add_co_ci_u32_e32 v91, vcc_lo, s3, v89, vcc_lo
	v_add_co_u32 v92, vcc_lo, v90, s4
	v_add_co_ci_u32_e32 v93, vcc_lo, s3, v91, vcc_lo
	;; [unrolled: 2-line block ×7, first 2 shown]
	s_waitcnt vmcnt(10) lgkmcnt(10)
	v_mul_f64 v[104:105], v[46:47], v[2:3]
	v_mul_f64 v[2:3], v[44:45], v[2:3]
	s_waitcnt vmcnt(9) lgkmcnt(9)
	v_mul_f64 v[106:107], v[50:51], v[6:7]
	v_mul_f64 v[6:7], v[48:49], v[6:7]
	s_waitcnt vmcnt(8) lgkmcnt(8)
	v_mul_f64 v[108:109], v[54:55], v[10:11]
	v_mul_f64 v[10:11], v[52:53], v[10:11]
	s_waitcnt vmcnt(7) lgkmcnt(7)
	v_mul_f64 v[110:111], v[58:59], v[14:15]
	v_mul_f64 v[14:15], v[56:57], v[14:15]
	s_waitcnt vmcnt(6) lgkmcnt(6)
	v_mul_f64 v[112:113], v[62:63], v[18:19]
	v_mul_f64 v[18:19], v[60:61], v[18:19]
	s_waitcnt vmcnt(5) lgkmcnt(5)
	v_mul_f64 v[114:115], v[66:67], v[22:23]
	v_mul_f64 v[22:23], v[64:65], v[22:23]
	s_waitcnt vmcnt(4) lgkmcnt(4)
	v_mul_f64 v[116:117], v[70:71], v[26:27]
	v_mul_f64 v[26:27], v[68:69], v[26:27]
	s_waitcnt vmcnt(3) lgkmcnt(3)
	v_mul_f64 v[118:119], v[74:75], v[30:31]
	v_mul_f64 v[30:31], v[72:73], v[30:31]
	s_waitcnt vmcnt(2) lgkmcnt(2)
	v_mul_f64 v[120:121], v[78:79], v[34:35]
	v_mul_f64 v[34:35], v[76:77], v[34:35]
	s_waitcnt vmcnt(1) lgkmcnt(1)
	v_mul_f64 v[122:123], v[82:83], v[38:39]
	v_mul_f64 v[38:39], v[80:81], v[38:39]
	s_waitcnt vmcnt(0) lgkmcnt(0)
	v_mul_f64 v[124:125], v[86:87], v[42:43]
	v_mul_f64 v[42:43], v[84:85], v[42:43]
	v_fma_f64 v[44:45], v[44:45], v[0:1], v[104:105]
	v_fma_f64 v[2:3], v[0:1], v[46:47], -v[2:3]
	v_fma_f64 v[46:47], v[48:49], v[4:5], v[106:107]
	v_fma_f64 v[6:7], v[4:5], v[50:51], -v[6:7]
	;; [unrolled: 2-line block ×11, first 2 shown]
	v_mul_f64 v[0:1], v[44:45], s[0:1]
	v_mul_f64 v[2:3], v[2:3], s[0:1]
	v_mul_f64 v[4:5], v[46:47], s[0:1]
	v_mul_f64 v[6:7], v[6:7], s[0:1]
	v_mul_f64 v[8:9], v[48:49], s[0:1]
	v_mul_f64 v[10:11], v[10:11], s[0:1]
	v_mul_f64 v[12:13], v[50:51], s[0:1]
	v_mul_f64 v[14:15], v[14:15], s[0:1]
	v_mul_f64 v[16:17], v[52:53], s[0:1]
	v_mul_f64 v[18:19], v[18:19], s[0:1]
	v_mul_f64 v[20:21], v[54:55], s[0:1]
	v_mul_f64 v[22:23], v[22:23], s[0:1]
	v_mul_f64 v[24:25], v[56:57], s[0:1]
	v_mul_f64 v[26:27], v[26:27], s[0:1]
	v_mul_f64 v[28:29], v[58:59], s[0:1]
	v_mul_f64 v[30:31], v[30:31], s[0:1]
	v_mul_f64 v[32:33], v[60:61], s[0:1]
	v_mul_f64 v[34:35], v[34:35], s[0:1]
	v_mul_f64 v[36:37], v[62:63], s[0:1]
	v_mul_f64 v[38:39], v[38:39], s[0:1]
	v_mul_f64 v[40:41], v[64:65], s[0:1]
	v_mul_f64 v[42:43], v[42:43], s[0:1]
	v_add_co_u32 v44, vcc_lo, v102, s4
	v_add_co_ci_u32_e32 v45, vcc_lo, s3, v103, vcc_lo
	v_add_co_u32 v46, vcc_lo, v44, s4
	v_add_co_ci_u32_e32 v47, vcc_lo, s3, v45, vcc_lo
	;; [unrolled: 2-line block ×3, first 2 shown]
	global_store_dwordx4 v[88:89], v[0:3], off
	global_store_dwordx4 v[90:91], v[4:7], off
	;; [unrolled: 1-line block ×11, first 2 shown]
.LBB0_15:
	s_endpgm
	.section	.rodata,"a",@progbits
	.p2align	6, 0x0
	.amdhsa_kernel bluestein_single_fwd_len539_dim1_dp_op_CI_CI
		.amdhsa_group_segment_fixed_size 25872
		.amdhsa_private_segment_fixed_size 0
		.amdhsa_kernarg_size 104
		.amdhsa_user_sgpr_count 6
		.amdhsa_user_sgpr_private_segment_buffer 1
		.amdhsa_user_sgpr_dispatch_ptr 0
		.amdhsa_user_sgpr_queue_ptr 0
		.amdhsa_user_sgpr_kernarg_segment_ptr 1
		.amdhsa_user_sgpr_dispatch_id 0
		.amdhsa_user_sgpr_flat_scratch_init 0
		.amdhsa_user_sgpr_private_segment_size 0
		.amdhsa_wavefront_size32 1
		.amdhsa_uses_dynamic_stack 0
		.amdhsa_system_sgpr_private_segment_wavefront_offset 0
		.amdhsa_system_sgpr_workgroup_id_x 1
		.amdhsa_system_sgpr_workgroup_id_y 0
		.amdhsa_system_sgpr_workgroup_id_z 0
		.amdhsa_system_sgpr_workgroup_info 0
		.amdhsa_system_vgpr_workitem_id 0
		.amdhsa_next_free_vgpr 215
		.amdhsa_next_free_sgpr 38
		.amdhsa_reserve_vcc 1
		.amdhsa_reserve_flat_scratch 0
		.amdhsa_float_round_mode_32 0
		.amdhsa_float_round_mode_16_64 0
		.amdhsa_float_denorm_mode_32 3
		.amdhsa_float_denorm_mode_16_64 3
		.amdhsa_dx10_clamp 1
		.amdhsa_ieee_mode 1
		.amdhsa_fp16_overflow 0
		.amdhsa_workgroup_processor_mode 1
		.amdhsa_memory_ordered 1
		.amdhsa_forward_progress 0
		.amdhsa_shared_vgpr_count 0
		.amdhsa_exception_fp_ieee_invalid_op 0
		.amdhsa_exception_fp_denorm_src 0
		.amdhsa_exception_fp_ieee_div_zero 0
		.amdhsa_exception_fp_ieee_overflow 0
		.amdhsa_exception_fp_ieee_underflow 0
		.amdhsa_exception_fp_ieee_inexact 0
		.amdhsa_exception_int_div_zero 0
	.end_amdhsa_kernel
	.text
.Lfunc_end0:
	.size	bluestein_single_fwd_len539_dim1_dp_op_CI_CI, .Lfunc_end0-bluestein_single_fwd_len539_dim1_dp_op_CI_CI
                                        ; -- End function
	.section	.AMDGPU.csdata,"",@progbits
; Kernel info:
; codeLenInByte = 13704
; NumSgprs: 40
; NumVgprs: 215
; ScratchSize: 0
; MemoryBound: 0
; FloatMode: 240
; IeeeMode: 1
; LDSByteSize: 25872 bytes/workgroup (compile time only)
; SGPRBlocks: 4
; VGPRBlocks: 26
; NumSGPRsForWavesPerEU: 40
; NumVGPRsForWavesPerEU: 215
; Occupancy: 4
; WaveLimiterHint : 1
; COMPUTE_PGM_RSRC2:SCRATCH_EN: 0
; COMPUTE_PGM_RSRC2:USER_SGPR: 6
; COMPUTE_PGM_RSRC2:TRAP_HANDLER: 0
; COMPUTE_PGM_RSRC2:TGID_X_EN: 1
; COMPUTE_PGM_RSRC2:TGID_Y_EN: 0
; COMPUTE_PGM_RSRC2:TGID_Z_EN: 0
; COMPUTE_PGM_RSRC2:TIDIG_COMP_CNT: 0
	.text
	.p2alignl 6, 3214868480
	.fill 48, 4, 3214868480
	.type	__hip_cuid_c31d979ed3bf907,@object ; @__hip_cuid_c31d979ed3bf907
	.section	.bss,"aw",@nobits
	.globl	__hip_cuid_c31d979ed3bf907
__hip_cuid_c31d979ed3bf907:
	.byte	0                               ; 0x0
	.size	__hip_cuid_c31d979ed3bf907, 1

	.ident	"AMD clang version 19.0.0git (https://github.com/RadeonOpenCompute/llvm-project roc-6.4.0 25133 c7fe45cf4b819c5991fe208aaa96edf142730f1d)"
	.section	".note.GNU-stack","",@progbits
	.addrsig
	.addrsig_sym __hip_cuid_c31d979ed3bf907
	.amdgpu_metadata
---
amdhsa.kernels:
  - .args:
      - .actual_access:  read_only
        .address_space:  global
        .offset:         0
        .size:           8
        .value_kind:     global_buffer
      - .actual_access:  read_only
        .address_space:  global
        .offset:         8
        .size:           8
        .value_kind:     global_buffer
      - .actual_access:  read_only
        .address_space:  global
        .offset:         16
        .size:           8
        .value_kind:     global_buffer
      - .actual_access:  read_only
        .address_space:  global
        .offset:         24
        .size:           8
        .value_kind:     global_buffer
      - .actual_access:  read_only
        .address_space:  global
        .offset:         32
        .size:           8
        .value_kind:     global_buffer
      - .offset:         40
        .size:           8
        .value_kind:     by_value
      - .address_space:  global
        .offset:         48
        .size:           8
        .value_kind:     global_buffer
      - .address_space:  global
        .offset:         56
        .size:           8
        .value_kind:     global_buffer
      - .address_space:  global
        .offset:         64
        .size:           8
        .value_kind:     global_buffer
      - .address_space:  global
        .offset:         72
        .size:           8
        .value_kind:     global_buffer
      - .offset:         80
        .size:           4
        .value_kind:     by_value
      - .address_space:  global
        .offset:         88
        .size:           8
        .value_kind:     global_buffer
      - .address_space:  global
        .offset:         96
        .size:           8
        .value_kind:     global_buffer
    .group_segment_fixed_size: 25872
    .kernarg_segment_align: 8
    .kernarg_segment_size: 104
    .language:       OpenCL C
    .language_version:
      - 2
      - 0
    .max_flat_workgroup_size: 231
    .name:           bluestein_single_fwd_len539_dim1_dp_op_CI_CI
    .private_segment_fixed_size: 0
    .sgpr_count:     40
    .sgpr_spill_count: 0
    .symbol:         bluestein_single_fwd_len539_dim1_dp_op_CI_CI.kd
    .uniform_work_group_size: 1
    .uses_dynamic_stack: false
    .vgpr_count:     215
    .vgpr_spill_count: 0
    .wavefront_size: 32
    .workgroup_processor_mode: 1
amdhsa.target:   amdgcn-amd-amdhsa--gfx1030
amdhsa.version:
  - 1
  - 2
...

	.end_amdgpu_metadata
